;; amdgpu-corpus repo=ROCm/rocFFT kind=compiled arch=gfx906 opt=O3
	.text
	.amdgcn_target "amdgcn-amd-amdhsa--gfx906"
	.amdhsa_code_object_version 6
	.protected	fft_rtc_back_len1470_factors_2_3_5_7_7_wgs_210_tpt_210_halfLds_half_ip_CI_unitstride_sbrr_R2C_dirReg ; -- Begin function fft_rtc_back_len1470_factors_2_3_5_7_7_wgs_210_tpt_210_halfLds_half_ip_CI_unitstride_sbrr_R2C_dirReg
	.globl	fft_rtc_back_len1470_factors_2_3_5_7_7_wgs_210_tpt_210_halfLds_half_ip_CI_unitstride_sbrr_R2C_dirReg
	.p2align	8
	.type	fft_rtc_back_len1470_factors_2_3_5_7_7_wgs_210_tpt_210_halfLds_half_ip_CI_unitstride_sbrr_R2C_dirReg,@function
fft_rtc_back_len1470_factors_2_3_5_7_7_wgs_210_tpt_210_halfLds_half_ip_CI_unitstride_sbrr_R2C_dirReg: ; @fft_rtc_back_len1470_factors_2_3_5_7_7_wgs_210_tpt_210_halfLds_half_ip_CI_unitstride_sbrr_R2C_dirReg
; %bb.0:
	s_load_dwordx2 s[12:13], s[4:5], 0x50
	s_load_dwordx4 s[8:11], s[4:5], 0x0
	s_load_dwordx2 s[2:3], s[4:5], 0x18
	v_mul_u32_u24_e32 v1, 0x139, v0
	v_add_u32_sdwa v5, s6, v1 dst_sel:DWORD dst_unused:UNUSED_PAD src0_sel:DWORD src1_sel:WORD_1
	v_mov_b32_e32 v3, 0
	s_waitcnt lgkmcnt(0)
	v_cmp_lt_u64_e64 s[0:1], s[10:11], 2
	v_mov_b32_e32 v1, 0
	v_mov_b32_e32 v6, v3
	s_and_b64 vcc, exec, s[0:1]
	v_mov_b32_e32 v2, 0
	s_cbranch_vccnz .LBB0_8
; %bb.1:
	s_load_dwordx2 s[0:1], s[4:5], 0x10
	s_add_u32 s6, s2, 8
	s_addc_u32 s7, s3, 0
	v_mov_b32_e32 v1, 0
	v_mov_b32_e32 v2, 0
	s_waitcnt lgkmcnt(0)
	s_add_u32 s14, s0, 8
	s_addc_u32 s15, s1, 0
	s_mov_b64 s[16:17], 1
.LBB0_2:                                ; =>This Inner Loop Header: Depth=1
	s_load_dwordx2 s[18:19], s[14:15], 0x0
                                        ; implicit-def: $vgpr7_vgpr8
	s_waitcnt lgkmcnt(0)
	v_or_b32_e32 v4, s19, v6
	v_cmp_ne_u64_e32 vcc, 0, v[3:4]
	s_and_saveexec_b64 s[0:1], vcc
	s_xor_b64 s[20:21], exec, s[0:1]
	s_cbranch_execz .LBB0_4
; %bb.3:                                ;   in Loop: Header=BB0_2 Depth=1
	v_cvt_f32_u32_e32 v4, s18
	v_cvt_f32_u32_e32 v7, s19
	s_sub_u32 s0, 0, s18
	s_subb_u32 s1, 0, s19
	v_mac_f32_e32 v4, 0x4f800000, v7
	v_rcp_f32_e32 v4, v4
	v_mul_f32_e32 v4, 0x5f7ffffc, v4
	v_mul_f32_e32 v7, 0x2f800000, v4
	v_trunc_f32_e32 v7, v7
	v_mac_f32_e32 v4, 0xcf800000, v7
	v_cvt_u32_f32_e32 v7, v7
	v_cvt_u32_f32_e32 v4, v4
	v_mul_lo_u32 v8, s0, v7
	v_mul_hi_u32 v9, s0, v4
	v_mul_lo_u32 v11, s1, v4
	v_mul_lo_u32 v10, s0, v4
	v_add_u32_e32 v8, v9, v8
	v_add_u32_e32 v8, v8, v11
	v_mul_hi_u32 v9, v4, v10
	v_mul_lo_u32 v11, v4, v8
	v_mul_hi_u32 v13, v4, v8
	v_mul_hi_u32 v12, v7, v10
	v_mul_lo_u32 v10, v7, v10
	v_mul_hi_u32 v14, v7, v8
	v_add_co_u32_e32 v9, vcc, v9, v11
	v_addc_co_u32_e32 v11, vcc, 0, v13, vcc
	v_mul_lo_u32 v8, v7, v8
	v_add_co_u32_e32 v9, vcc, v9, v10
	v_addc_co_u32_e32 v9, vcc, v11, v12, vcc
	v_addc_co_u32_e32 v10, vcc, 0, v14, vcc
	v_add_co_u32_e32 v8, vcc, v9, v8
	v_addc_co_u32_e32 v9, vcc, 0, v10, vcc
	v_add_co_u32_e32 v4, vcc, v4, v8
	v_addc_co_u32_e32 v7, vcc, v7, v9, vcc
	v_mul_lo_u32 v8, s0, v7
	v_mul_hi_u32 v9, s0, v4
	v_mul_lo_u32 v10, s1, v4
	v_mul_lo_u32 v11, s0, v4
	v_add_u32_e32 v8, v9, v8
	v_add_u32_e32 v8, v8, v10
	v_mul_lo_u32 v12, v4, v8
	v_mul_hi_u32 v13, v4, v11
	v_mul_hi_u32 v14, v4, v8
	;; [unrolled: 1-line block ×3, first 2 shown]
	v_mul_lo_u32 v11, v7, v11
	v_mul_hi_u32 v9, v7, v8
	v_add_co_u32_e32 v12, vcc, v13, v12
	v_addc_co_u32_e32 v13, vcc, 0, v14, vcc
	v_mul_lo_u32 v8, v7, v8
	v_add_co_u32_e32 v11, vcc, v12, v11
	v_addc_co_u32_e32 v10, vcc, v13, v10, vcc
	v_addc_co_u32_e32 v9, vcc, 0, v9, vcc
	v_add_co_u32_e32 v8, vcc, v10, v8
	v_addc_co_u32_e32 v9, vcc, 0, v9, vcc
	v_add_co_u32_e32 v4, vcc, v4, v8
	v_addc_co_u32_e32 v9, vcc, v7, v9, vcc
	v_mad_u64_u32 v[7:8], s[0:1], v5, v9, 0
	v_mul_hi_u32 v10, v5, v4
	v_add_co_u32_e32 v11, vcc, v10, v7
	v_addc_co_u32_e32 v12, vcc, 0, v8, vcc
	v_mad_u64_u32 v[7:8], s[0:1], v6, v4, 0
	v_mad_u64_u32 v[9:10], s[0:1], v6, v9, 0
	v_add_co_u32_e32 v4, vcc, v11, v7
	v_addc_co_u32_e32 v4, vcc, v12, v8, vcc
	v_addc_co_u32_e32 v7, vcc, 0, v10, vcc
	v_add_co_u32_e32 v4, vcc, v4, v9
	v_addc_co_u32_e32 v9, vcc, 0, v7, vcc
	v_mul_lo_u32 v10, s19, v4
	v_mul_lo_u32 v11, s18, v9
	v_mad_u64_u32 v[7:8], s[0:1], s18, v4, 0
	v_add3_u32 v8, v8, v11, v10
	v_sub_u32_e32 v10, v6, v8
	v_mov_b32_e32 v11, s19
	v_sub_co_u32_e32 v7, vcc, v5, v7
	v_subb_co_u32_e64 v10, s[0:1], v10, v11, vcc
	v_subrev_co_u32_e64 v11, s[0:1], s18, v7
	v_subbrev_co_u32_e64 v10, s[0:1], 0, v10, s[0:1]
	v_cmp_le_u32_e64 s[0:1], s19, v10
	v_cndmask_b32_e64 v12, 0, -1, s[0:1]
	v_cmp_le_u32_e64 s[0:1], s18, v11
	v_cndmask_b32_e64 v11, 0, -1, s[0:1]
	v_cmp_eq_u32_e64 s[0:1], s19, v10
	v_cndmask_b32_e64 v10, v12, v11, s[0:1]
	v_add_co_u32_e64 v11, s[0:1], 2, v4
	v_addc_co_u32_e64 v12, s[0:1], 0, v9, s[0:1]
	v_add_co_u32_e64 v13, s[0:1], 1, v4
	v_addc_co_u32_e64 v14, s[0:1], 0, v9, s[0:1]
	v_subb_co_u32_e32 v8, vcc, v6, v8, vcc
	v_cmp_ne_u32_e64 s[0:1], 0, v10
	v_cmp_le_u32_e32 vcc, s19, v8
	v_cndmask_b32_e64 v10, v14, v12, s[0:1]
	v_cndmask_b32_e64 v12, 0, -1, vcc
	v_cmp_le_u32_e32 vcc, s18, v7
	v_cndmask_b32_e64 v7, 0, -1, vcc
	v_cmp_eq_u32_e32 vcc, s19, v8
	v_cndmask_b32_e32 v7, v12, v7, vcc
	v_cmp_ne_u32_e32 vcc, 0, v7
	v_cndmask_b32_e64 v7, v13, v11, s[0:1]
	v_cndmask_b32_e32 v8, v9, v10, vcc
	v_cndmask_b32_e32 v7, v4, v7, vcc
.LBB0_4:                                ;   in Loop: Header=BB0_2 Depth=1
	s_andn2_saveexec_b64 s[0:1], s[20:21]
	s_cbranch_execz .LBB0_6
; %bb.5:                                ;   in Loop: Header=BB0_2 Depth=1
	v_cvt_f32_u32_e32 v4, s18
	s_sub_i32 s20, 0, s18
	v_rcp_iflag_f32_e32 v4, v4
	v_mul_f32_e32 v4, 0x4f7ffffe, v4
	v_cvt_u32_f32_e32 v4, v4
	v_mul_lo_u32 v7, s20, v4
	v_mul_hi_u32 v7, v4, v7
	v_add_u32_e32 v4, v4, v7
	v_mul_hi_u32 v4, v5, v4
	v_mul_lo_u32 v7, v4, s18
	v_add_u32_e32 v8, 1, v4
	v_sub_u32_e32 v7, v5, v7
	v_subrev_u32_e32 v9, s18, v7
	v_cmp_le_u32_e32 vcc, s18, v7
	v_cndmask_b32_e32 v7, v7, v9, vcc
	v_cndmask_b32_e32 v4, v4, v8, vcc
	v_add_u32_e32 v8, 1, v4
	v_cmp_le_u32_e32 vcc, s18, v7
	v_cndmask_b32_e32 v7, v4, v8, vcc
	v_mov_b32_e32 v8, v3
.LBB0_6:                                ;   in Loop: Header=BB0_2 Depth=1
	s_or_b64 exec, exec, s[0:1]
	v_mul_lo_u32 v4, v8, s18
	v_mul_lo_u32 v11, v7, s19
	v_mad_u64_u32 v[9:10], s[0:1], v7, s18, 0
	s_load_dwordx2 s[0:1], s[6:7], 0x0
	s_add_u32 s16, s16, 1
	v_add3_u32 v4, v10, v11, v4
	v_sub_co_u32_e32 v5, vcc, v5, v9
	v_subb_co_u32_e32 v4, vcc, v6, v4, vcc
	s_waitcnt lgkmcnt(0)
	v_mul_lo_u32 v4, s0, v4
	v_mul_lo_u32 v6, s1, v5
	v_mad_u64_u32 v[1:2], s[0:1], s0, v5, v[1:2]
	s_addc_u32 s17, s17, 0
	s_add_u32 s6, s6, 8
	v_add3_u32 v2, v6, v2, v4
	v_mov_b32_e32 v4, s10
	v_mov_b32_e32 v5, s11
	s_addc_u32 s7, s7, 0
	v_cmp_ge_u64_e32 vcc, s[16:17], v[4:5]
	s_add_u32 s14, s14, 8
	s_addc_u32 s15, s15, 0
	s_cbranch_vccnz .LBB0_9
; %bb.7:                                ;   in Loop: Header=BB0_2 Depth=1
	v_mov_b32_e32 v5, v7
	v_mov_b32_e32 v6, v8
	s_branch .LBB0_2
.LBB0_8:
	v_mov_b32_e32 v8, v6
	v_mov_b32_e32 v7, v5
.LBB0_9:
	s_lshl_b64 s[0:1], s[10:11], 3
	s_add_u32 s0, s2, s0
	s_addc_u32 s1, s3, s1
	s_load_dwordx2 s[2:3], s[0:1], 0x0
	s_load_dwordx2 s[6:7], s[4:5], 0x20
                                        ; implicit-def: $vgpr6
	s_waitcnt lgkmcnt(0)
	v_mad_u64_u32 v[1:2], s[0:1], s2, v7, v[1:2]
	s_mov_b32 s0, 0x1381382
	v_mul_lo_u32 v3, s2, v8
	v_mul_lo_u32 v4, s3, v7
	v_mul_hi_u32 v5, v0, s0
	v_cmp_gt_u64_e64 s[0:1], s[6:7], v[7:8]
	v_cmp_le_u64_e32 vcc, s[6:7], v[7:8]
	v_add3_u32 v2, v4, v2, v3
	v_mul_u32_u24_e32 v3, 0xd2, v5
	v_sub_u32_e32 v0, v0, v3
                                        ; implicit-def: $vgpr4
                                        ; implicit-def: $vgpr7
	s_and_saveexec_b64 s[2:3], vcc
	s_xor_b64 s[2:3], exec, s[2:3]
; %bb.10:
	v_add_u32_e32 v4, 0xd2, v0
	v_add_u32_e32 v7, 0x1a4, v0
	;; [unrolled: 1-line block ×3, first 2 shown]
; %bb.11:
	s_or_saveexec_b64 s[2:3], s[2:3]
	v_lshlrev_b64 v[2:3], 2, v[1:2]
	s_xor_b64 exec, exec, s[2:3]
	s_cbranch_execz .LBB0_13
; %bb.12:
	v_mov_b32_e32 v1, 0
	v_mov_b32_e32 v4, s13
	v_add_co_u32_e32 v6, vcc, s12, v2
	v_addc_co_u32_e32 v7, vcc, v4, v3, vcc
	v_lshlrev_b64 v[4:5], 2, v[0:1]
	v_add_co_u32_e32 v4, vcc, v6, v4
	v_addc_co_u32_e32 v5, vcc, v7, v5, vcc
	v_add_co_u32_e32 v6, vcc, 0x1000, v4
	v_addc_co_u32_e32 v7, vcc, 0, v5, vcc
	global_load_dword v1, v[4:5], off
	global_load_dword v8, v[4:5], off offset:840
	global_load_dword v9, v[4:5], off offset:1680
	;; [unrolled: 1-line block ×6, first 2 shown]
	v_lshl_add_u32 v5, v0, 2, 0
	v_add_u32_e32 v4, 0xd2, v0
	v_add_u32_e32 v7, 0x1a4, v0
	;; [unrolled: 1-line block ×5, first 2 shown]
	s_waitcnt vmcnt(5)
	ds_write2_b32 v5, v1, v8 offset1:210
	s_waitcnt vmcnt(3)
	ds_write2_b32 v14, v9, v10 offset0:36 offset1:246
	s_waitcnt vmcnt(1)
	ds_write2_b32 v15, v11, v12 offset0:8 offset1:218
	s_waitcnt vmcnt(0)
	ds_write_b32 v5, v13 offset:5040
.LBB0_13:
	s_or_b64 exec, exec, s[2:3]
	v_lshlrev_b32_e32 v1, 2, v0
	v_add_u32_e32 v12, 0, v1
	v_add_u32_e32 v5, 0x600, v12
	s_waitcnt lgkmcnt(0)
	s_barrier
	ds_read2_b32 v[8:9], v5 offset0:36 offset1:246
	v_add_u32_e32 v5, 0x1200, v12
	ds_read2_b32 v[10:11], v5 offset0:3 offset1:213
	v_add_u32_e32 v5, 0xb00, v12
	ds_read2_b32 v[15:16], v12 offset1:210
	ds_read2_b32 v[19:20], v5 offset0:31 offset1:241
	s_movk_i32 s2, 0x69
	s_waitcnt lgkmcnt(2)
	v_pk_add_f16 v13, v9, v11 neg_lo:[0,1] neg_hi:[0,1]
	v_pk_fma_f16 v14, v9, 2.0, v13 op_sel_hi:[1,0,1] neg_lo:[0,0,1] neg_hi:[0,0,1]
	v_add_u32_e32 v9, v12, v1
	s_waitcnt lgkmcnt(0)
	v_pk_add_f16 v17, v15, v19 neg_lo:[0,1] neg_hi:[0,1]
	v_lshl_add_u32 v5, v4, 3, 0
	v_pk_add_f16 v10, v8, v10 neg_lo:[0,1] neg_hi:[0,1]
	v_lshl_add_u32 v18, v7, 3, 0
	v_pk_add_f16 v11, v16, v20 neg_lo:[0,1] neg_hi:[0,1]
	v_pk_fma_f16 v15, v15, 2.0, v17 op_sel_hi:[1,0,1] neg_lo:[0,0,1] neg_hi:[0,0,1]
	v_cmp_gt_u32_e32 vcc, s2, v0
	v_pk_fma_f16 v8, v8, 2.0, v10 op_sel_hi:[1,0,1] neg_lo:[0,0,1] neg_hi:[0,0,1]
	v_pk_fma_f16 v16, v16, 2.0, v11 op_sel_hi:[1,0,1] neg_lo:[0,0,1] neg_hi:[0,0,1]
	s_barrier
	ds_write2_b32 v9, v15, v17 offset1:1
	ds_write2_b32 v5, v16, v11 offset1:1
	;; [unrolled: 1-line block ×3, first 2 shown]
	s_and_saveexec_b64 s[2:3], vcc
	s_cbranch_execz .LBB0_15
; %bb.14:
	v_lshl_add_u32 v8, v6, 3, 0
	ds_write2_b32 v8, v14, v13 offset1:1
.LBB0_15:
	s_or_b64 exec, exec, s[2:3]
	v_lshlrev_b32_e32 v22, 2, v4
	v_add_u32_e32 v8, 0x700, v12
	v_add_u32_e32 v10, 0xf00, v12
	v_sub_u32_e32 v15, v5, v22
	s_waitcnt lgkmcnt(0)
	s_barrier
	ds_read2_b32 v[8:9], v8 offset0:42 offset1:252
	ds_read2_b32 v[10:11], v10 offset0:20 offset1:230
	ds_read_b32 v17, v12
	ds_read_b32 v16, v15
	ds_read_u16 v15, v15 offset:2
	s_movk_i32 s2, 0x46
	v_cmp_gt_u32_e64 s[2:3], s2, v0
	v_lshrrev_b32_e32 v20, 16, v13
                                        ; implicit-def: $vgpr21
                                        ; implicit-def: $vgpr19
	s_and_saveexec_b64 s[4:5], s[2:3]
	s_cbranch_execz .LBB0_17
; %bb.16:
	v_lshlrev_b32_e32 v13, 2, v7
	v_sub_u32_e32 v14, v18, v13
	ds_read_b32 v13, v12 offset:3640
	ds_read_b32 v19, v12 offset:5600
	ds_read_b32 v14, v14
	s_waitcnt lgkmcnt(2)
	v_lshrrev_b32_e32 v20, 16, v13
	s_waitcnt lgkmcnt(1)
	v_lshrrev_b32_e32 v21, 16, v19
.LBB0_17:
	s_or_b64 exec, exec, s[4:5]
	v_and_b32_e32 v18, 1, v0
	v_lshlrev_b32_e32 v23, 3, v18
	global_load_dwordx2 v[23:24], v23, s[8:9]
	s_waitcnt lgkmcnt(4)
	v_lshrrev_b32_e32 v26, 16, v8
	s_waitcnt lgkmcnt(3)
	v_lshrrev_b32_e32 v28, 16, v10
	v_lshrrev_b32_e32 v27, 16, v9
	v_lshrrev_b32_e32 v29, 16, v11
	s_waitcnt lgkmcnt(2)
	v_lshrrev_b32_e32 v30, 16, v17
	v_lshrrev_b32_e32 v31, 1, v0
	;; [unrolled: 1-line block ×3, first 2 shown]
	s_mov_b32 s4, 0xbaee
	s_movk_i32 s5, 0x3aee
	v_mul_u32_u24_e32 v31, 6, v31
	v_mul_lo_u32 v32, v32, 6
	v_or_b32_e32 v31, v31, v18
	v_sub_u32_e32 v25, 0, v22
	s_waitcnt lgkmcnt(0)
	v_lshrrev_b32_e32 v22, 16, v14
	v_lshl_add_u32 v31, v31, 2, 0
	s_waitcnt vmcnt(0)
	s_barrier
	v_mul_f16_sdwa v33, v23, v26 dst_sel:DWORD dst_unused:UNUSED_PAD src0_sel:WORD_1 src1_sel:DWORD
	v_mul_f16_sdwa v35, v23, v8 dst_sel:DWORD dst_unused:UNUSED_PAD src0_sel:WORD_1 src1_sel:DWORD
	;; [unrolled: 1-line block ×8, first 2 shown]
	v_mul_f16_sdwa v41, v20, v23 dst_sel:DWORD dst_unused:UNUSED_PAD src0_sel:DWORD src1_sel:WORD_1
	v_mul_f16_sdwa v42, v13, v23 dst_sel:DWORD dst_unused:UNUSED_PAD src0_sel:DWORD src1_sel:WORD_1
	;; [unrolled: 1-line block ×4, first 2 shown]
	v_fma_f16 v8, v23, v8, v33
	v_fma_f16 v10, v24, v10, v37
	v_fma_f16 v26, v23, v26, -v35
	v_fma_f16 v28, v24, v28, -v39
	v_fma_f16 v9, v23, v9, v34
	v_fma_f16 v11, v24, v11, v38
	v_fma_f16 v27, v23, v27, -v36
	v_fma_f16 v29, v24, v29, -v40
	v_fma_f16 v33, v13, v23, v41
	v_fma_f16 v13, v20, v23, -v42
	v_fma_f16 v19, v19, v24, v43
	v_fma_f16 v20, v21, v24, -v44
	v_add_f16_e32 v23, v8, v10
	v_sub_f16_e32 v24, v26, v28
	v_add_f16_e32 v34, v26, v30
	v_add_f16_e32 v26, v26, v28
	;; [unrolled: 1-line block ×3, first 2 shown]
	v_sub_f16_e32 v8, v8, v10
	v_sub_f16_e32 v37, v27, v29
	v_add_f16_e32 v38, v15, v27
	v_add_f16_e32 v27, v27, v29
	v_fma_f16 v17, v23, -0.5, v17
	v_fma_f16 v23, v26, -0.5, v30
	v_add_f16_e32 v35, v9, v16
	v_add_f16_e32 v36, v9, v11
	v_sub_f16_e32 v9, v9, v11
	v_add_f16_e32 v10, v21, v10
	v_add_f16_e32 v21, v34, v28
	;; [unrolled: 1-line block ×3, first 2 shown]
	v_fma_f16 v15, v27, -0.5, v15
	v_fma_f16 v27, v24, s4, v17
	v_fma_f16 v29, v8, s5, v23
	v_add_f16_e32 v41, v13, v20
	v_fma_f16 v16, v36, -0.5, v16
	v_pack_b32_f16 v21, v10, v21
	v_fma_f16 v17, v24, s5, v17
	v_fma_f16 v23, v8, s4, v23
	;; [unrolled: 1-line block ×4, first 2 shown]
	v_pack_b32_f16 v9, v27, v29
	v_add_f16_e32 v40, v22, v13
	v_add_f16_e32 v42, v33, v19
	v_fma_f16 v22, v41, -0.5, v22
	v_fma_f16 v24, v37, s4, v16
	v_fma_f16 v8, v37, s5, v16
	v_pack_b32_f16 v16, v17, v23
	ds_write2_b32 v31, v21, v9 offset1:2
	ds_write_b32 v31, v16 offset:16
	v_sub_f16_e32 v9, v33, v19
	v_sub_f16_e32 v39, v13, v20
	v_add_f16_e32 v43, v14, v33
	v_add_f16_e32 v26, v35, v11
	;; [unrolled: 1-line block ×3, first 2 shown]
	v_fma_f16 v20, v42, -0.5, v14
	v_fma_f16 v16, v9, s5, v22
	v_fma_f16 v17, v9, s4, v22
	v_or_b32_e32 v9, v32, v18
	v_add_f16_e32 v11, v43, v19
	v_fma_f16 v14, v39, s4, v20
	v_fma_f16 v15, v39, s5, v20
	v_lshl_add_u32 v9, v9, 2, 0
	v_pack_b32_f16 v19, v26, v28
	v_pack_b32_f16 v20, v24, v30
	ds_write2_b32 v9, v19, v20 offset1:2
	v_pack_b32_f16 v19, v8, v10
	ds_write_b32 v9, v19 offset:16
	s_and_saveexec_b64 s[4:5], s[2:3]
	s_cbranch_execz .LBB0_19
; %bb.18:
	v_lshrrev_b32_e32 v9, 1, v7
	v_mul_lo_u32 v9, v9, 6
	s_mov_b32 s2, 0x5040100
	v_perm_b32 v19, v13, v11, s2
	v_perm_b32 v20, v16, v14, s2
	v_or_b32_e32 v9, v9, v18
	v_lshl_add_u32 v9, v9, 2, 0
	v_perm_b32 v18, v17, v15, s2
	ds_write2_b32 v9, v19, v20 offset1:2
	ds_write_b32 v9, v18 offset:16
.LBB0_19:
	s_or_b64 exec, exec, s[4:5]
	s_waitcnt lgkmcnt(0)
	s_barrier
	ds_read_b32 v20, v12
	ds_read_b32 v24, v12 offset:1176
	ds_read_b32 v23, v12 offset:2352
	ds_read_b32 v22, v12 offset:3528
	ds_read_b32 v21, v12 offset:4704
	s_movk_i32 s2, 0x54
	v_cmp_gt_u32_e64 s[2:3], s2, v0
	v_add_u32_e32 v9, v5, v25
                                        ; implicit-def: $vgpr19
                                        ; implicit-def: $vgpr18
	s_and_saveexec_b64 s[4:5], s[2:3]
	s_cbranch_execz .LBB0_21
; %bb.20:
	ds_read_b32 v8, v9
	ds_read_b32 v18, v12 offset:5544
	ds_read_b32 v11, v12 offset:2016
	;; [unrolled: 1-line block ×4, first 2 shown]
	s_waitcnt lgkmcnt(4)
	v_lshrrev_b32_e32 v10, 16, v8
	s_waitcnt lgkmcnt(3)
	v_lshrrev_b32_e32 v19, 16, v18
	;; [unrolled: 2-line block ×5, first 2 shown]
.LBB0_21:
	s_or_b64 exec, exec, s[4:5]
	s_movk_i32 s4, 0xab
	v_mul_lo_u16_sdwa v5, v0, s4 dst_sel:DWORD dst_unused:UNUSED_PAD src0_sel:BYTE_0 src1_sel:DWORD
	v_lshrrev_b16_e32 v29, 10, v5
	v_mul_lo_u16_e32 v5, 6, v29
	v_sub_u16_e32 v30, v0, v5
	v_mov_b32_e32 v5, 4
	v_lshlrev_b32_sdwa v5, v5, v30 dst_sel:DWORD dst_unused:UNUSED_PAD src0_sel:DWORD src1_sel:BYTE_0
	global_load_dwordx4 v[25:28], v5, s[8:9] offset:16
	s_waitcnt lgkmcnt(3)
	v_lshrrev_b32_e32 v32, 16, v24
	s_waitcnt lgkmcnt(2)
	v_lshrrev_b32_e32 v33, 16, v23
	;; [unrolled: 2-line block ×4, first 2 shown]
	v_lshrrev_b32_e32 v31, 16, v20
	s_mov_b32 s10, 0xbb9c
	s_movk_i32 s14, 0x3b9c
	s_mov_b32 s7, 0xb8b4
	s_movk_i32 s11, 0x38b4
	v_mov_b32_e32 v5, 2
	s_movk_i32 s6, 0x34f2
	v_lshlrev_b32_sdwa v30, v5, v30 dst_sel:DWORD dst_unused:UNUSED_PAD src0_sel:DWORD src1_sel:BYTE_0
	s_waitcnt vmcnt(0)
	s_barrier
	v_mul_f16_sdwa v36, v25, v32 dst_sel:DWORD dst_unused:UNUSED_PAD src0_sel:WORD_1 src1_sel:DWORD
	v_mul_f16_sdwa v37, v25, v24 dst_sel:DWORD dst_unused:UNUSED_PAD src0_sel:WORD_1 src1_sel:DWORD
	;; [unrolled: 1-line block ×8, first 2 shown]
	v_fma_f16 v24, v25, v24, v36
	v_fma_f16 v25, v25, v32, -v37
	v_fma_f16 v23, v26, v23, v38
	v_fma_f16 v26, v26, v33, -v39
	;; [unrolled: 2-line block ×4, first 2 shown]
	v_add_f16_e32 v32, v20, v24
	v_add_f16_e32 v33, v23, v22
	v_sub_f16_e32 v36, v24, v23
	v_sub_f16_e32 v37, v21, v22
	v_add_f16_e32 v38, v24, v21
	v_add_f16_e32 v41, v31, v25
	;; [unrolled: 1-line block ×4, first 2 shown]
	v_sub_f16_e32 v34, v25, v28
	v_sub_f16_e32 v35, v26, v27
	v_sub_f16_e32 v39, v23, v24
	v_sub_f16_e32 v40, v22, v21
	v_sub_f16_e32 v24, v24, v21
	v_sub_f16_e32 v43, v23, v22
	v_sub_f16_e32 v44, v25, v26
	v_sub_f16_e32 v25, v26, v25
	v_add_f16_e32 v23, v32, v23
	v_fma_f16 v32, v33, -0.5, v20
	v_add_f16_e32 v33, v36, v37
	v_fma_f16 v20, v38, -0.5, v20
	;; [unrolled: 2-line block ×3, first 2 shown]
	v_fma_f16 v31, v46, -0.5, v31
	v_sub_f16_e32 v45, v28, v27
	v_sub_f16_e32 v47, v27, v28
	v_add_f16_e32 v36, v39, v40
	v_add_f16_e32 v22, v23, v22
	v_fma_f16 v23, v34, s10, v32
	v_fma_f16 v32, v34, s14, v32
	;; [unrolled: 1-line block ×4, first 2 shown]
	v_add_f16_e32 v26, v26, v27
	v_fma_f16 v27, v24, s14, v37
	v_fma_f16 v40, v43, s10, v31
	;; [unrolled: 1-line block ×3, first 2 shown]
	v_add_f16_e32 v38, v44, v45
	v_add_f16_e32 v25, v25, v47
	v_fma_f16 v37, v24, s10, v37
	v_add_f16_e32 v21, v22, v21
	v_fma_f16 v22, v35, s7, v23
	v_fma_f16 v23, v35, s11, v32
	;; [unrolled: 1-line block ×7, first 2 shown]
	v_add_f16_e32 v26, v26, v28
	v_fma_f16 v22, v33, s6, v22
	v_fma_f16 v31, v36, s6, v32
	;; [unrolled: 1-line block ×5, first 2 shown]
	v_mul_u32_u24_e32 v25, 0x78, v29
	v_fma_f16 v28, v43, s7, v37
	v_fma_f16 v20, v36, s6, v20
	v_add3_u32 v25, 0, v25, v30
	v_pack_b32_f16 v21, v21, v26
	v_pack_b32_f16 v22, v22, v27
	v_fma_f16 v23, v33, s6, v23
	v_fma_f16 v28, v38, s6, v28
	ds_write2_b32 v25, v21, v22 offset1:6
	v_pack_b32_f16 v21, v31, v32
	v_pack_b32_f16 v20, v20, v24
	ds_write2_b32 v25, v21, v20 offset0:12 offset1:18
	v_pack_b32_f16 v20, v23, v28
	ds_write_b32 v25, v20 offset:96
	s_and_saveexec_b64 s[4:5], s[2:3]
	s_cbranch_execz .LBB0_23
; %bb.22:
	s_mov_b32 s2, 0xaaab
	v_mul_u32_u24_sdwa v20, v4, s2 dst_sel:DWORD dst_unused:UNUSED_PAD src0_sel:WORD_0 src1_sel:DWORD
	v_lshrrev_b32_e32 v24, 18, v20
	v_mul_lo_u16_e32 v20, 6, v24
	v_sub_u16_e32 v25, v4, v20
	v_lshlrev_b32_e32 v20, 4, v25
	global_load_dwordx4 v[20:23], v20, s[8:9] offset:16
	v_mul_lo_u16_e32 v24, 30, v24
	v_lshlrev_b32_e32 v24, 2, v24
	v_lshlrev_b32_e32 v25, 2, v25
	v_add3_u32 v24, 0, v25, v24
	s_waitcnt vmcnt(0)
	v_mul_f16_sdwa v25, v14, v21 dst_sel:DWORD dst_unused:UNUSED_PAD src0_sel:DWORD src1_sel:WORD_1
	v_mul_f16_sdwa v26, v11, v20 dst_sel:DWORD dst_unused:UNUSED_PAD src0_sel:DWORD src1_sel:WORD_1
	;; [unrolled: 1-line block ×8, first 2 shown]
	v_fma_f16 v16, v16, v21, -v25
	v_fma_f16 v13, v13, v20, -v26
	;; [unrolled: 1-line block ×4, first 2 shown]
	v_fma_f16 v11, v11, v20, v29
	v_fma_f16 v18, v18, v23, v30
	;; [unrolled: 1-line block ×4, first 2 shown]
	v_sub_f16_e32 v20, v16, v13
	v_sub_f16_e32 v21, v17, v19
	v_add_f16_e32 v23, v13, v19
	v_sub_f16_e32 v26, v14, v11
	v_sub_f16_e32 v27, v15, v18
	v_add_f16_e32 v28, v11, v18
	v_add_f16_e32 v33, v16, v17
	;; [unrolled: 1-line block ×3, first 2 shown]
	v_sub_f16_e32 v22, v11, v18
	v_sub_f16_e32 v30, v13, v19
	;; [unrolled: 1-line block ×5, first 2 shown]
	v_add_f16_e32 v13, v10, v13
	v_add_f16_e32 v11, v8, v11
	;; [unrolled: 1-line block ×3, first 2 shown]
	v_fma_f16 v21, v23, -0.5, v10
	v_add_f16_e32 v23, v26, v27
	v_fma_f16 v26, v28, -0.5, v8
	v_fma_f16 v10, v33, -0.5, v10
	;; [unrolled: 1-line block ×3, first 2 shown]
	v_sub_f16_e32 v25, v14, v15
	v_sub_f16_e32 v29, v16, v17
	;; [unrolled: 1-line block ×3, first 2 shown]
	v_add_f16_e32 v27, v31, v32
	v_add_f16_e32 v13, v13, v16
	;; [unrolled: 1-line block ×3, first 2 shown]
	v_fma_f16 v31, v22, s14, v10
	v_fma_f16 v32, v30, s10, v8
	v_add_f16_e32 v28, v34, v35
	v_fma_f16 v14, v25, s10, v21
	v_fma_f16 v16, v29, s14, v26
	v_add_f16_e32 v13, v13, v17
	v_add_f16_e32 v11, v11, v15
	v_fma_f16 v15, v25, s14, v21
	v_fma_f16 v10, v22, s10, v10
	;; [unrolled: 1-line block ×8, first 2 shown]
	v_add_f16_e32 v13, v13, v19
	v_add_f16_e32 v11, v11, v18
	v_fma_f16 v15, v22, s7, v15
	v_fma_f16 v10, v25, s7, v10
	;; [unrolled: 1-line block ×12, first 2 shown]
	v_pack_b32_f16 v11, v11, v13
	v_pack_b32_f16 v13, v19, v18
	;; [unrolled: 1-line block ×5, first 2 shown]
	ds_write2_b32 v24, v11, v13 offset1:6
	ds_write2_b32 v24, v14, v15 offset0:12 offset1:18
	ds_write_b32 v24, v8 offset:96
.LBB0_23:
	s_or_b64 exec, exec, s[4:5]
	s_movk_i32 s2, 0x89
	v_mul_lo_u16_sdwa v8, v0, s2 dst_sel:DWORD dst_unused:UNUSED_PAD src0_sel:BYTE_0 src1_sel:DWORD
	v_lshrrev_b16_e32 v8, 12, v8
	v_mul_lo_u16_e32 v10, 30, v8
	v_sub_u16_e32 v21, v0, v10
	v_mov_b32_e32 v10, 6
	v_mul_u32_u24_sdwa v10, v21, v10 dst_sel:DWORD dst_unused:UNUSED_PAD src0_sel:BYTE_0 src1_sel:DWORD
	v_lshlrev_b32_e32 v10, 2, v10
	s_waitcnt lgkmcnt(0)
	s_barrier
	global_load_dwordx4 v[13:16], v10, s[8:9] offset:112
	global_load_dwordx2 v[17:18], v10, s[8:9] offset:128
	v_lshl_add_u32 v11, v7, 2, 0
	ds_read_b32 v22, v12
	ds_read_b32 v23, v9
	v_lshl_add_u32 v10, v6, 2, 0
	v_add_u32_e32 v24, 0xd00, v12
	ds_read_b32 v25, v11
	ds_read_b32 v26, v10
	ds_read2_b32 v[19:20], v24 offset0:8 offset1:218
	ds_read_b32 v27, v12 offset:5040
	s_movk_i32 s2, 0x2b26
	s_waitcnt lgkmcnt(4)
	v_lshrrev_b32_e32 v28, 16, v23
	s_waitcnt lgkmcnt(3)
	v_lshrrev_b32_e32 v29, 16, v25
	;; [unrolled: 2-line block ×4, first 2 shown]
	v_lshrrev_b32_e32 v30, 16, v26
	v_lshrrev_b32_e32 v31, 16, v19
	s_mov_b32 s4, 0xbcab
	s_movk_i32 s5, 0x39e0
	s_mov_b32 s6, 0xb9e0
	s_mov_b32 s7, 0xb574
	;; [unrolled: 1-line block ×3, first 2 shown]
	s_movk_i32 s10, 0x3574
	s_mov_b32 s11, 0xb70e
	v_mul_u32_u24_e32 v8, 0x348, v8
	v_lshlrev_b32_sdwa v5, v5, v21 dst_sel:DWORD dst_unused:UNUSED_PAD src0_sel:DWORD src1_sel:BYTE_0
	v_add3_u32 v5, 0, v8, v5
	s_waitcnt vmcnt(0)
	s_barrier
	v_mul_f16_sdwa v34, v13, v28 dst_sel:DWORD dst_unused:UNUSED_PAD src0_sel:WORD_1 src1_sel:DWORD
	v_mul_f16_sdwa v35, v13, v23 dst_sel:DWORD dst_unused:UNUSED_PAD src0_sel:WORD_1 src1_sel:DWORD
	;; [unrolled: 1-line block ×12, first 2 shown]
	v_fma_f16 v23, v13, v23, v34
	v_fma_f16 v13, v13, v28, -v35
	v_fma_f16 v25, v14, v25, v36
	v_fma_f16 v14, v14, v29, -v37
	;; [unrolled: 2-line block ×6, first 2 shown]
	v_add_f16_e32 v28, v23, v27
	v_add_f16_e32 v29, v13, v18
	v_sub_f16_e32 v23, v23, v27
	v_sub_f16_e32 v13, v13, v18
	v_add_f16_e32 v18, v25, v20
	v_add_f16_e32 v27, v14, v17
	v_sub_f16_e32 v20, v25, v20
	v_sub_f16_e32 v14, v14, v17
	;; [unrolled: 4-line block ×4, first 2 shown]
	v_sub_f16_e32 v28, v28, v17
	v_sub_f16_e32 v29, v29, v25
	;; [unrolled: 1-line block ×4, first 2 shown]
	v_add_f16_e32 v32, v19, v20
	v_add_f16_e32 v33, v15, v14
	v_sub_f16_e32 v34, v19, v20
	v_sub_f16_e32 v35, v15, v14
	v_add_f16_e32 v16, v17, v16
	v_add_f16_e32 v17, v25, v26
	v_sub_f16_e32 v19, v23, v19
	v_sub_f16_e32 v15, v13, v15
	;; [unrolled: 1-line block ×4, first 2 shown]
	v_add_f16_e32 v23, v32, v23
	v_add_f16_e32 v13, v33, v13
	v_mul_f16_e32 v25, 0x3a52, v28
	v_mul_f16_e32 v26, 0x3a52, v29
	;; [unrolled: 1-line block ×6, first 2 shown]
	v_add_f16_e32 v34, v16, v22
	v_add_f16_sdwa v22, v17, v22 dst_sel:DWORD dst_unused:UNUSED_PAD src0_sel:DWORD src1_sel:WORD_1
	v_mul_f16_e32 v35, 0xbb00, v20
	v_mul_f16_e32 v36, 0xbb00, v14
	v_fma_f16 v16, v16, s4, v34
	v_fma_f16 v17, v17, s4, v22
	;; [unrolled: 1-line block ×4, first 2 shown]
	v_fma_f16 v28, v30, s5, -v28
	v_fma_f16 v29, v31, s5, -v29
	;; [unrolled: 1-line block ×4, first 2 shown]
	v_fma_f16 v30, v19, s7, v32
	v_fma_f16 v31, v15, s7, v33
	v_fma_f16 v20, v20, s3, -v32
	v_fma_f16 v14, v14, s3, -v33
	v_fma_f16 v19, v19, s10, -v35
	v_fma_f16 v15, v15, s10, -v36
	v_add_f16_e32 v18, v18, v16
	v_add_f16_e32 v27, v27, v17
	;; [unrolled: 1-line block ×6, first 2 shown]
	v_fma_f16 v25, v23, s11, v30
	v_fma_f16 v26, v13, s11, v31
	;; [unrolled: 1-line block ×6, first 2 shown]
	v_add_f16_e32 v15, v26, v18
	v_sub_f16_e32 v23, v27, v25
	v_add_f16_e32 v30, v13, v16
	v_sub_f16_e32 v31, v17, v19
	v_sub_f16_e32 v32, v28, v14
	v_add_f16_e32 v33, v20, v29
	v_pack_b32_f16 v8, v34, v22
	v_pack_b32_f16 v15, v15, v23
	v_add_f16_e32 v14, v14, v28
	v_sub_f16_e32 v20, v29, v20
	v_sub_f16_e32 v13, v16, v13
	v_add_f16_e32 v16, v19, v17
	ds_write2_b32 v5, v8, v15 offset1:30
	v_pack_b32_f16 v8, v30, v31
	v_pack_b32_f16 v15, v32, v33
	v_sub_f16_e32 v17, v18, v26
	v_add_f16_e32 v18, v25, v27
	ds_write2_b32 v5, v8, v15 offset0:60 offset1:90
	v_pack_b32_f16 v8, v14, v20
	v_pack_b32_f16 v13, v13, v16
	ds_write2_b32 v5, v8, v13 offset0:120 offset1:150
	v_pack_b32_f16 v8, v17, v18
	ds_write_b32 v5, v8 offset:720
	v_mul_u32_u24_e32 v5, 6, v0
	v_lshlrev_b32_e32 v5, 2, v5
	s_waitcnt lgkmcnt(0)
	s_barrier
	global_load_dwordx4 v[13:16], v5, s[8:9] offset:832
	global_load_dwordx2 v[17:18], v5, s[8:9] offset:848
	ds_read_b32 v5, v12
	ds_read_b32 v8, v9
	;; [unrolled: 1-line block ×4, first 2 shown]
	ds_read2_b32 v[19:20], v24 offset0:8 offset1:218
	ds_read_b32 v23, v12 offset:5040
	s_waitcnt lgkmcnt(4)
	v_lshrrev_b32_e32 v25, 16, v8
	s_waitcnt lgkmcnt(3)
	v_lshrrev_b32_e32 v26, 16, v21
	s_waitcnt vmcnt(0) lgkmcnt(0)
	s_barrier
	v_mul_f16_sdwa v27, v13, v25 dst_sel:DWORD dst_unused:UNUSED_PAD src0_sel:WORD_1 src1_sel:DWORD
	v_mul_f16_sdwa v28, v13, v8 dst_sel:DWORD dst_unused:UNUSED_PAD src0_sel:WORD_1 src1_sel:DWORD
	;; [unrolled: 1-line block ×4, first 2 shown]
	v_fma_f16 v8, v13, v8, v27
	v_fma_f16 v13, v13, v25, -v28
	v_lshrrev_b32_e32 v25, 16, v22
	v_fma_f16 v21, v14, v21, v29
	v_fma_f16 v14, v14, v26, -v30
	v_mul_f16_sdwa v26, v15, v25 dst_sel:DWORD dst_unused:UNUSED_PAD src0_sel:WORD_1 src1_sel:DWORD
	v_fma_f16 v26, v15, v22, v26
	v_mul_f16_sdwa v22, v15, v22 dst_sel:DWORD dst_unused:UNUSED_PAD src0_sel:WORD_1 src1_sel:DWORD
	v_fma_f16 v15, v15, v25, -v22
	v_lshrrev_b32_e32 v22, 16, v19
	v_mul_f16_sdwa v25, v16, v22 dst_sel:DWORD dst_unused:UNUSED_PAD src0_sel:WORD_1 src1_sel:DWORD
	v_fma_f16 v25, v16, v19, v25
	v_mul_f16_sdwa v19, v16, v19 dst_sel:DWORD dst_unused:UNUSED_PAD src0_sel:WORD_1 src1_sel:DWORD
	v_fma_f16 v16, v16, v22, -v19
	v_lshrrev_b32_e32 v19, 16, v20
	;; [unrolled: 5-line block ×3, first 2 shown]
	v_mul_f16_sdwa v20, v18, v19 dst_sel:DWORD dst_unused:UNUSED_PAD src0_sel:WORD_1 src1_sel:DWORD
	v_fma_f16 v20, v18, v23, v20
	v_mul_f16_sdwa v23, v18, v23 dst_sel:DWORD dst_unused:UNUSED_PAD src0_sel:WORD_1 src1_sel:DWORD
	v_fma_f16 v18, v18, v19, -v23
	v_add_f16_e32 v19, v8, v20
	v_add_f16_e32 v23, v13, v18
	v_sub_f16_e32 v8, v8, v20
	v_sub_f16_e32 v13, v13, v18
	v_add_f16_e32 v18, v21, v22
	v_add_f16_e32 v20, v14, v17
	v_sub_f16_e32 v21, v21, v22
	v_sub_f16_e32 v14, v14, v17
	;; [unrolled: 4-line block ×4, first 2 shown]
	v_sub_f16_e32 v19, v19, v17
	v_sub_f16_e32 v23, v23, v22
	;; [unrolled: 1-line block ×4, first 2 shown]
	v_add_f16_e32 v29, v25, v21
	v_add_f16_e32 v30, v15, v14
	v_sub_f16_e32 v31, v25, v21
	v_sub_f16_e32 v32, v15, v14
	v_add_f16_e32 v16, v17, v16
	v_add_f16_e32 v17, v22, v26
	v_sub_f16_e32 v25, v8, v25
	v_sub_f16_e32 v15, v13, v15
	;; [unrolled: 1-line block ×4, first 2 shown]
	v_add_f16_e32 v8, v29, v8
	v_add_f16_e32 v13, v30, v13
	;; [unrolled: 1-line block ×3, first 2 shown]
	v_add_f16_sdwa v5, v17, v5 dst_sel:DWORD dst_unused:UNUSED_PAD src0_sel:DWORD src1_sel:WORD_1
	v_mul_f16_e32 v19, 0x3a52, v19
	v_mul_f16_e32 v23, 0x3a52, v23
	;; [unrolled: 1-line block ×8, first 2 shown]
	v_fma_f16 v16, v16, s4, v22
	v_fma_f16 v17, v17, s4, v5
	;; [unrolled: 1-line block ×4, first 2 shown]
	v_fma_f16 v26, v27, s5, -v26
	v_fma_f16 v29, v28, s5, -v29
	;; [unrolled: 1-line block ×4, first 2 shown]
	v_fma_f16 v27, v25, s7, v30
	v_fma_f16 v28, v15, s7, v31
	v_fma_f16 v21, v21, s3, -v30
	v_fma_f16 v14, v14, s3, -v31
	;; [unrolled: 1-line block ×4, first 2 shown]
	v_add_f16_e32 v18, v18, v16
	v_add_f16_e32 v20, v20, v17
	;; [unrolled: 1-line block ×6, first 2 shown]
	v_fma_f16 v19, v8, s11, v27
	v_fma_f16 v23, v13, s11, v28
	;; [unrolled: 1-line block ×6, first 2 shown]
	v_add_f16_e32 v15, v23, v18
	v_sub_f16_e32 v25, v20, v19
	v_add_f16_e32 v27, v13, v16
	v_sub_f16_e32 v28, v17, v8
	v_sub_f16_e32 v30, v26, v14
	v_add_f16_e32 v31, v21, v29
	v_pack_b32_f16 v5, v22, v5
	v_pack_b32_f16 v15, v15, v25
	v_add_f16_e32 v14, v14, v26
	v_sub_f16_e32 v21, v29, v21
	v_sub_f16_e32 v13, v16, v13
	v_add_f16_e32 v8, v8, v17
	v_sub_f16_e32 v16, v18, v23
	ds_write2_b32 v12, v5, v15 offset1:210
	v_pack_b32_f16 v5, v27, v28
	v_pack_b32_f16 v15, v30, v31
	v_add_u32_e32 v18, 0x600, v12
	v_add_f16_e32 v17, v19, v20
	ds_write2_b32 v18, v5, v15 offset0:36 offset1:246
	v_pack_b32_f16 v5, v14, v21
	v_pack_b32_f16 v8, v13, v8
	ds_write2_b32 v24, v5, v8 offset0:8 offset1:218
	v_pack_b32_f16 v5, v16, v17
	ds_write_b32 v12, v5 offset:5040
	s_waitcnt lgkmcnt(0)
	s_barrier
	ds_read_b32 v5, v12
	s_add_u32 s6, s8, 0x16f0
	s_addc_u32 s7, s9, 0
	v_sub_u32_e32 v13, 0, v1
	v_cmp_ne_u32_e64 s[2:3], 0, v0
                                        ; implicit-def: $vgpr15
                                        ; implicit-def: $vgpr14
                                        ; implicit-def: $vgpr1
	s_and_saveexec_b64 s[4:5], s[2:3]
	s_xor_b64 s[4:5], exec, s[4:5]
	s_cbranch_execz .LBB0_25
; %bb.24:
	v_mov_b32_e32 v1, 0
	v_lshlrev_b64 v[14:15], 2, v[0:1]
	v_mov_b32_e32 v1, s7
	v_add_co_u32_e64 v14, s[2:3], s6, v14
	v_addc_co_u32_e64 v15, s[2:3], v1, v15, s[2:3]
	global_load_dword v8, v[14:15], off
	ds_read_b32 v1, v13 offset:5880
	s_waitcnt lgkmcnt(0)
	v_add_f16_sdwa v15, v1, v5 dst_sel:DWORD dst_unused:UNUSED_PAD src0_sel:WORD_1 src1_sel:WORD_1
	v_sub_f16_e32 v16, v5, v1
	v_add_f16_e32 v14, v1, v5
	v_sub_f16_sdwa v1, v5, v1 dst_sel:DWORD dst_unused:UNUSED_PAD src0_sel:WORD_1 src1_sel:WORD_1
	v_mul_f16_e32 v5, 0.5, v15
	v_mul_f16_e32 v15, 0.5, v16
	;; [unrolled: 1-line block ×3, first 2 shown]
	s_waitcnt vmcnt(0)
	v_lshrrev_b32_e32 v16, 16, v8
	v_mul_f16_e32 v17, v16, v15
	v_fma_f16 v19, v14, 0.5, v17
	v_fma_f16 v18, v5, v16, v1
	v_fma_f16 v16, v5, v16, -v1
	v_fma_f16 v14, v14, 0.5, -v17
	v_fma_f16 v17, v8, v5, v19
	v_fma_f16 v1, -v8, v15, v18
	v_fma_f16 v14, -v8, v5, v14
	ds_write_b16 v12, v17
	v_fma_f16 v15, -v8, v15, v16
                                        ; implicit-def: $vgpr5
.LBB0_25:
	s_andn2_saveexec_b64 s[2:3], s[4:5]
	s_cbranch_execz .LBB0_27
; %bb.26:
	v_mov_b32_e32 v1, 0
	ds_read_u16 v8, v1 offset:2942
	s_waitcnt lgkmcnt(1)
	v_add_f16_sdwa v15, v5, v5 dst_sel:DWORD dst_unused:UNUSED_PAD src0_sel:WORD_1 src1_sel:DWORD
	v_sub_f16_sdwa v14, v5, v5 dst_sel:DWORD dst_unused:UNUSED_PAD src0_sel:DWORD src1_sel:WORD_1
	ds_write_b16 v12, v15
	v_mov_b32_e32 v15, 0
	s_waitcnt lgkmcnt(1)
	v_xor_b32_e32 v5, 0x8000, v8
	ds_write_b16 v1, v5 offset:2942
.LBB0_27:
	s_or_b64 exec, exec, s[2:3]
	s_waitcnt lgkmcnt(0)
	v_mov_b32_e32 v5, 0
	v_lshlrev_b64 v[16:17], 2, v[4:5]
	v_mov_b32_e32 v4, s7
	v_add_co_u32_e64 v16, s[2:3], s6, v16
	v_addc_co_u32_e64 v17, s[2:3], v4, v17, s[2:3]
	global_load_dword v4, v[16:17], off
	v_mov_b32_e32 v8, v5
	v_lshlrev_b64 v[7:8], 2, v[7:8]
	v_mov_b32_e32 v16, s7
	v_add_co_u32_e64 v7, s[2:3], s6, v7
	v_addc_co_u32_e64 v8, s[2:3], v16, v8, s[2:3]
	global_load_dword v7, v[7:8], off
	s_mov_b32 s2, 0x5040100
	ds_write_b16 v12, v1 offset:2
	v_perm_b32 v1, v15, v14, s2
	ds_write_b32 v13, v1 offset:5880
	ds_read_b32 v8, v13 offset:5040
	ds_read_b32 v1, v9
	s_mov_b32 s4, 0xffff
	s_waitcnt lgkmcnt(0)
	v_pk_add_f16 v14, v1, v8 neg_lo:[0,1] neg_hi:[0,1]
	v_pk_add_f16 v1, v1, v8
	v_bfi_b32 v8, s4, v14, v1
	v_bfi_b32 v1, s4, v1, v14
	v_pk_mul_f16 v8, v8, 0.5 op_sel_hi:[1,0]
	v_pk_mul_f16 v1, v1, 0.5 op_sel_hi:[1,0]
	s_waitcnt vmcnt(1)
	v_pk_fma_f16 v14, v4, v8, v1 op_sel:[1,0,0]
	v_pk_mul_f16 v15, v4, v8 op_sel_hi:[0,1]
	v_pk_fma_f16 v16, v4, v8, v1 op_sel:[1,0,0] neg_lo:[1,0,0] neg_hi:[1,0,0]
	v_pk_fma_f16 v1, v4, v8, v1 op_sel:[1,0,0] neg_lo:[0,0,1] neg_hi:[0,0,1]
	v_pk_add_f16 v4, v14, v15 op_sel:[0,1] op_sel_hi:[1,0]
	v_pk_add_f16 v8, v14, v15 op_sel:[0,1] op_sel_hi:[1,0] neg_lo:[0,1] neg_hi:[0,1]
	v_pk_add_f16 v14, v16, v15 op_sel:[0,1] op_sel_hi:[1,0] neg_lo:[0,1] neg_hi:[0,1]
	;; [unrolled: 1-line block ×3, first 2 shown]
	v_bfi_b32 v4, s4, v4, v8
	v_bfi_b32 v1, s4, v14, v1
	ds_write_b32 v9, v4
	ds_write_b32 v13, v1 offset:5040
	ds_read_b32 v1, v11
	ds_read_b32 v4, v13 offset:4200
	s_waitcnt lgkmcnt(0)
	v_pk_add_f16 v8, v1, v4 neg_lo:[0,1] neg_hi:[0,1]
	v_pk_add_f16 v1, v1, v4
	v_bfi_b32 v4, s4, v8, v1
	v_bfi_b32 v1, s4, v1, v8
	v_pk_mul_f16 v4, v4, 0.5 op_sel_hi:[1,0]
	v_pk_mul_f16 v1, v1, 0.5 op_sel_hi:[1,0]
	s_waitcnt vmcnt(0)
	v_pk_fma_f16 v8, v7, v4, v1 op_sel:[1,0,0]
	v_pk_mul_f16 v9, v7, v4 op_sel_hi:[0,1]
	v_pk_fma_f16 v14, v7, v4, v1 op_sel:[1,0,0] neg_lo:[1,0,0] neg_hi:[1,0,0]
	v_pk_fma_f16 v1, v7, v4, v1 op_sel:[1,0,0] neg_lo:[0,0,1] neg_hi:[0,0,1]
	v_pk_add_f16 v4, v8, v9 op_sel:[0,1] op_sel_hi:[1,0]
	v_pk_add_f16 v7, v8, v9 op_sel:[0,1] op_sel_hi:[1,0] neg_lo:[0,1] neg_hi:[0,1]
	v_pk_add_f16 v8, v14, v9 op_sel:[0,1] op_sel_hi:[1,0] neg_lo:[0,1] neg_hi:[0,1]
	;; [unrolled: 1-line block ×3, first 2 shown]
	v_bfi_b32 v4, s4, v4, v7
	v_bfi_b32 v1, s4, v8, v1
	ds_write_b32 v11, v4
	ds_write_b32 v13, v1 offset:4200
	s_and_saveexec_b64 s[2:3], vcc
	s_cbranch_execz .LBB0_29
; %bb.28:
	v_mov_b32_e32 v7, v5
	v_lshlrev_b64 v[4:5], 2, v[6:7]
	v_mov_b32_e32 v1, s7
	v_add_co_u32_e32 v4, vcc, s6, v4
	v_addc_co_u32_e32 v5, vcc, v1, v5, vcc
	global_load_dword v1, v[4:5], off
	ds_read_b32 v4, v10
	ds_read_b32 v5, v13 offset:3360
	s_waitcnt lgkmcnt(0)
	v_pk_add_f16 v6, v4, v5 neg_lo:[0,1] neg_hi:[0,1]
	v_pk_add_f16 v4, v4, v5
	v_bfi_b32 v5, s4, v6, v4
	v_bfi_b32 v4, s4, v4, v6
	v_pk_mul_f16 v5, v5, 0.5 op_sel_hi:[1,0]
	v_pk_mul_f16 v4, v4, 0.5 op_sel_hi:[1,0]
	s_waitcnt vmcnt(0)
	v_pk_fma_f16 v6, v1, v5, v4 op_sel:[1,0,0]
	v_pk_mul_f16 v7, v1, v5 op_sel_hi:[0,1]
	v_pk_fma_f16 v8, v1, v5, v4 op_sel:[1,0,0] neg_lo:[1,0,0] neg_hi:[1,0,0]
	v_pk_fma_f16 v1, v1, v5, v4 op_sel:[1,0,0] neg_lo:[0,0,1] neg_hi:[0,0,1]
	v_pk_add_f16 v4, v6, v7 op_sel:[0,1] op_sel_hi:[1,0]
	v_pk_add_f16 v5, v6, v7 op_sel:[0,1] op_sel_hi:[1,0] neg_lo:[0,1] neg_hi:[0,1]
	v_pk_add_f16 v6, v8, v7 op_sel:[0,1] op_sel_hi:[1,0] neg_lo:[0,1] neg_hi:[0,1]
	;; [unrolled: 1-line block ×3, first 2 shown]
	v_bfi_b32 v4, s4, v4, v5
	v_bfi_b32 v1, s4, v6, v1
	ds_write_b32 v10, v4
	ds_write_b32 v13, v1 offset:3360
.LBB0_29:
	s_or_b64 exec, exec, s[2:3]
	s_waitcnt lgkmcnt(0)
	s_barrier
	s_and_saveexec_b64 s[2:3], s[0:1]
	s_cbranch_execz .LBB0_32
; %bb.30:
	v_mov_b32_e32 v1, 0
	ds_read2_b32 v[5:6], v12 offset1:210
	v_mov_b32_e32 v7, s13
	v_add_co_u32_e32 v4, vcc, s12, v2
	v_addc_co_u32_e32 v2, vcc, v7, v3, vcc
	v_lshlrev_b64 v[7:8], 2, v[0:1]
	v_add_u32_e32 v3, 0x600, v12
	ds_read2_b32 v[9:10], v3 offset0:36 offset1:246
	v_add_co_u32_e32 v7, vcc, v4, v7
	v_add_u32_e32 v3, 0xd00, v12
	v_addc_co_u32_e32 v8, vcc, v2, v8, vcc
	ds_read2_b32 v[13:14], v3 offset0:8 offset1:218
	s_waitcnt lgkmcnt(2)
	global_store_dword v[7:8], v5, off
	global_store_dword v[7:8], v6, off offset:840
	s_waitcnt lgkmcnt(1)
	global_store_dword v[7:8], v9, off offset:1680
	global_store_dword v[7:8], v10, off offset:2520
	s_waitcnt lgkmcnt(0)
	global_store_dword v[7:8], v13, off offset:3360
	ds_read_b32 v3, v12 offset:5040
	v_add_co_u32_e32 v5, vcc, 0x1000, v7
	v_addc_co_u32_e32 v6, vcc, 0, v8, vcc
	s_movk_i32 s0, 0xd1
	v_cmp_eq_u32_e32 vcc, s0, v0
	global_store_dword v[5:6], v14, off offset:104
	s_waitcnt lgkmcnt(0)
	global_store_dword v[5:6], v3, off offset:944
	s_and_b64 exec, exec, vcc
	s_cbranch_execz .LBB0_32
; %bb.31:
	ds_read_b32 v3, v1 offset:5880
	v_add_co_u32_e32 v0, vcc, 0x1000, v4
	v_addc_co_u32_e32 v1, vcc, 0, v2, vcc
	s_waitcnt lgkmcnt(0)
	global_store_dword v[0:1], v3, off offset:1784
.LBB0_32:
	s_endpgm
	.section	.rodata,"a",@progbits
	.p2align	6, 0x0
	.amdhsa_kernel fft_rtc_back_len1470_factors_2_3_5_7_7_wgs_210_tpt_210_halfLds_half_ip_CI_unitstride_sbrr_R2C_dirReg
		.amdhsa_group_segment_fixed_size 0
		.amdhsa_private_segment_fixed_size 0
		.amdhsa_kernarg_size 88
		.amdhsa_user_sgpr_count 6
		.amdhsa_user_sgpr_private_segment_buffer 1
		.amdhsa_user_sgpr_dispatch_ptr 0
		.amdhsa_user_sgpr_queue_ptr 0
		.amdhsa_user_sgpr_kernarg_segment_ptr 1
		.amdhsa_user_sgpr_dispatch_id 0
		.amdhsa_user_sgpr_flat_scratch_init 0
		.amdhsa_user_sgpr_private_segment_size 0
		.amdhsa_uses_dynamic_stack 0
		.amdhsa_system_sgpr_private_segment_wavefront_offset 0
		.amdhsa_system_sgpr_workgroup_id_x 1
		.amdhsa_system_sgpr_workgroup_id_y 0
		.amdhsa_system_sgpr_workgroup_id_z 0
		.amdhsa_system_sgpr_workgroup_info 0
		.amdhsa_system_vgpr_workitem_id 0
		.amdhsa_next_free_vgpr 48
		.amdhsa_next_free_sgpr 22
		.amdhsa_reserve_vcc 1
		.amdhsa_reserve_flat_scratch 0
		.amdhsa_float_round_mode_32 0
		.amdhsa_float_round_mode_16_64 0
		.amdhsa_float_denorm_mode_32 3
		.amdhsa_float_denorm_mode_16_64 3
		.amdhsa_dx10_clamp 1
		.amdhsa_ieee_mode 1
		.amdhsa_fp16_overflow 0
		.amdhsa_exception_fp_ieee_invalid_op 0
		.amdhsa_exception_fp_denorm_src 0
		.amdhsa_exception_fp_ieee_div_zero 0
		.amdhsa_exception_fp_ieee_overflow 0
		.amdhsa_exception_fp_ieee_underflow 0
		.amdhsa_exception_fp_ieee_inexact 0
		.amdhsa_exception_int_div_zero 0
	.end_amdhsa_kernel
	.text
.Lfunc_end0:
	.size	fft_rtc_back_len1470_factors_2_3_5_7_7_wgs_210_tpt_210_halfLds_half_ip_CI_unitstride_sbrr_R2C_dirReg, .Lfunc_end0-fft_rtc_back_len1470_factors_2_3_5_7_7_wgs_210_tpt_210_halfLds_half_ip_CI_unitstride_sbrr_R2C_dirReg
                                        ; -- End function
	.section	.AMDGPU.csdata,"",@progbits
; Kernel info:
; codeLenInByte = 6920
; NumSgprs: 26
; NumVgprs: 48
; ScratchSize: 0
; MemoryBound: 0
; FloatMode: 240
; IeeeMode: 1
; LDSByteSize: 0 bytes/workgroup (compile time only)
; SGPRBlocks: 3
; VGPRBlocks: 11
; NumSGPRsForWavesPerEU: 26
; NumVGPRsForWavesPerEU: 48
; Occupancy: 5
; WaveLimiterHint : 1
; COMPUTE_PGM_RSRC2:SCRATCH_EN: 0
; COMPUTE_PGM_RSRC2:USER_SGPR: 6
; COMPUTE_PGM_RSRC2:TRAP_HANDLER: 0
; COMPUTE_PGM_RSRC2:TGID_X_EN: 1
; COMPUTE_PGM_RSRC2:TGID_Y_EN: 0
; COMPUTE_PGM_RSRC2:TGID_Z_EN: 0
; COMPUTE_PGM_RSRC2:TIDIG_COMP_CNT: 0
	.type	__hip_cuid_fbe9f3d65f035aa4,@object ; @__hip_cuid_fbe9f3d65f035aa4
	.section	.bss,"aw",@nobits
	.globl	__hip_cuid_fbe9f3d65f035aa4
__hip_cuid_fbe9f3d65f035aa4:
	.byte	0                               ; 0x0
	.size	__hip_cuid_fbe9f3d65f035aa4, 1

	.ident	"AMD clang version 19.0.0git (https://github.com/RadeonOpenCompute/llvm-project roc-6.4.0 25133 c7fe45cf4b819c5991fe208aaa96edf142730f1d)"
	.section	".note.GNU-stack","",@progbits
	.addrsig
	.addrsig_sym __hip_cuid_fbe9f3d65f035aa4
	.amdgpu_metadata
---
amdhsa.kernels:
  - .args:
      - .actual_access:  read_only
        .address_space:  global
        .offset:         0
        .size:           8
        .value_kind:     global_buffer
      - .offset:         8
        .size:           8
        .value_kind:     by_value
      - .actual_access:  read_only
        .address_space:  global
        .offset:         16
        .size:           8
        .value_kind:     global_buffer
      - .actual_access:  read_only
        .address_space:  global
        .offset:         24
        .size:           8
        .value_kind:     global_buffer
      - .offset:         32
        .size:           8
        .value_kind:     by_value
      - .actual_access:  read_only
        .address_space:  global
        .offset:         40
        .size:           8
        .value_kind:     global_buffer
      - .actual_access:  read_only
        .address_space:  global
        .offset:         48
        .size:           8
        .value_kind:     global_buffer
      - .offset:         56
        .size:           4
        .value_kind:     by_value
      - .actual_access:  read_only
        .address_space:  global
        .offset:         64
        .size:           8
        .value_kind:     global_buffer
      - .actual_access:  read_only
        .address_space:  global
        .offset:         72
        .size:           8
        .value_kind:     global_buffer
      - .address_space:  global
        .offset:         80
        .size:           8
        .value_kind:     global_buffer
    .group_segment_fixed_size: 0
    .kernarg_segment_align: 8
    .kernarg_segment_size: 88
    .language:       OpenCL C
    .language_version:
      - 2
      - 0
    .max_flat_workgroup_size: 210
    .name:           fft_rtc_back_len1470_factors_2_3_5_7_7_wgs_210_tpt_210_halfLds_half_ip_CI_unitstride_sbrr_R2C_dirReg
    .private_segment_fixed_size: 0
    .sgpr_count:     26
    .sgpr_spill_count: 0
    .symbol:         fft_rtc_back_len1470_factors_2_3_5_7_7_wgs_210_tpt_210_halfLds_half_ip_CI_unitstride_sbrr_R2C_dirReg.kd
    .uniform_work_group_size: 1
    .uses_dynamic_stack: false
    .vgpr_count:     48
    .vgpr_spill_count: 0
    .wavefront_size: 64
amdhsa.target:   amdgcn-amd-amdhsa--gfx906
amdhsa.version:
  - 1
  - 2
...

	.end_amdgpu_metadata
